;; amdgpu-corpus repo=ROCm/rocFFT kind=compiled arch=gfx1030 opt=O3
	.text
	.amdgcn_target "amdgcn-amd-amdhsa--gfx1030"
	.amdhsa_code_object_version 6
	.protected	fft_rtc_back_len208_factors_13_16_wgs_64_tpt_16_halfLds_half_ip_CI_sbrr_dirReg ; -- Begin function fft_rtc_back_len208_factors_13_16_wgs_64_tpt_16_halfLds_half_ip_CI_sbrr_dirReg
	.globl	fft_rtc_back_len208_factors_13_16_wgs_64_tpt_16_halfLds_half_ip_CI_sbrr_dirReg
	.p2align	8
	.type	fft_rtc_back_len208_factors_13_16_wgs_64_tpt_16_halfLds_half_ip_CI_sbrr_dirReg,@function
fft_rtc_back_len208_factors_13_16_wgs_64_tpt_16_halfLds_half_ip_CI_sbrr_dirReg: ; @fft_rtc_back_len208_factors_13_16_wgs_64_tpt_16_halfLds_half_ip_CI_sbrr_dirReg
; %bb.0:
	s_clause 0x2
	s_load_dwordx2 s[14:15], s[4:5], 0x18
	s_load_dwordx4 s[8:11], s[4:5], 0x0
	s_load_dwordx2 s[12:13], s[4:5], 0x50
	v_lshrrev_b32_e32 v9, 4, v0
	v_mov_b32_e32 v3, 0
	v_mov_b32_e32 v1, 0
	;; [unrolled: 1-line block ×3, first 2 shown]
	v_lshl_or_b32 v5, s6, 2, v9
	v_mov_b32_e32 v6, v3
	s_waitcnt lgkmcnt(0)
	s_load_dwordx2 s[2:3], s[14:15], 0x0
	v_cmp_lt_u64_e64 s0, s[10:11], 2
	s_and_b32 vcc_lo, exec_lo, s0
	s_cbranch_vccnz .LBB0_8
; %bb.1:
	s_load_dwordx2 s[0:1], s[4:5], 0x10
	v_mov_b32_e32 v1, 0
	s_add_u32 s6, s14, 8
	v_mov_b32_e32 v2, 0
	s_addc_u32 s7, s15, 0
	s_mov_b64 s[18:19], 1
	s_waitcnt lgkmcnt(0)
	s_add_u32 s16, s0, 8
	s_addc_u32 s17, s1, 0
.LBB0_2:                                ; =>This Inner Loop Header: Depth=1
	s_load_dwordx2 s[20:21], s[16:17], 0x0
                                        ; implicit-def: $vgpr7_vgpr8
	s_mov_b32 s0, exec_lo
	s_waitcnt lgkmcnt(0)
	v_or_b32_e32 v4, s21, v6
	v_cmpx_ne_u64_e32 0, v[3:4]
	s_xor_b32 s1, exec_lo, s0
	s_cbranch_execz .LBB0_4
; %bb.3:                                ;   in Loop: Header=BB0_2 Depth=1
	v_cvt_f32_u32_e32 v4, s20
	v_cvt_f32_u32_e32 v7, s21
	s_sub_u32 s0, 0, s20
	s_subb_u32 s22, 0, s21
	v_fmac_f32_e32 v4, 0x4f800000, v7
	v_rcp_f32_e32 v4, v4
	v_mul_f32_e32 v4, 0x5f7ffffc, v4
	v_mul_f32_e32 v7, 0x2f800000, v4
	v_trunc_f32_e32 v7, v7
	v_fmac_f32_e32 v4, 0xcf800000, v7
	v_cvt_u32_f32_e32 v7, v7
	v_cvt_u32_f32_e32 v4, v4
	v_mul_lo_u32 v8, s0, v7
	v_mul_hi_u32 v10, s0, v4
	v_mul_lo_u32 v11, s22, v4
	v_add_nc_u32_e32 v8, v10, v8
	v_mul_lo_u32 v10, s0, v4
	v_add_nc_u32_e32 v8, v8, v11
	v_mul_hi_u32 v11, v4, v10
	v_mul_lo_u32 v12, v4, v8
	v_mul_hi_u32 v13, v4, v8
	v_mul_hi_u32 v14, v7, v10
	v_mul_lo_u32 v10, v7, v10
	v_mul_hi_u32 v15, v7, v8
	v_mul_lo_u32 v8, v7, v8
	v_add_co_u32 v11, vcc_lo, v11, v12
	v_add_co_ci_u32_e32 v12, vcc_lo, 0, v13, vcc_lo
	v_add_co_u32 v10, vcc_lo, v11, v10
	v_add_co_ci_u32_e32 v10, vcc_lo, v12, v14, vcc_lo
	v_add_co_ci_u32_e32 v11, vcc_lo, 0, v15, vcc_lo
	v_add_co_u32 v8, vcc_lo, v10, v8
	v_add_co_ci_u32_e32 v10, vcc_lo, 0, v11, vcc_lo
	v_add_co_u32 v4, vcc_lo, v4, v8
	v_add_co_ci_u32_e32 v7, vcc_lo, v7, v10, vcc_lo
	v_mul_hi_u32 v8, s0, v4
	v_mul_lo_u32 v11, s22, v4
	v_mul_lo_u32 v10, s0, v7
	v_add_nc_u32_e32 v8, v8, v10
	v_mul_lo_u32 v10, s0, v4
	v_add_nc_u32_e32 v8, v8, v11
	v_mul_hi_u32 v11, v4, v10
	v_mul_lo_u32 v12, v4, v8
	v_mul_hi_u32 v13, v4, v8
	v_mul_hi_u32 v14, v7, v10
	v_mul_lo_u32 v10, v7, v10
	v_mul_hi_u32 v15, v7, v8
	v_mul_lo_u32 v8, v7, v8
	v_add_co_u32 v11, vcc_lo, v11, v12
	v_add_co_ci_u32_e32 v12, vcc_lo, 0, v13, vcc_lo
	v_add_co_u32 v10, vcc_lo, v11, v10
	v_add_co_ci_u32_e32 v10, vcc_lo, v12, v14, vcc_lo
	v_add_co_ci_u32_e32 v11, vcc_lo, 0, v15, vcc_lo
	v_add_co_u32 v8, vcc_lo, v10, v8
	v_add_co_ci_u32_e32 v10, vcc_lo, 0, v11, vcc_lo
	v_add_co_u32 v4, vcc_lo, v4, v8
	v_add_co_ci_u32_e32 v12, vcc_lo, v7, v10, vcc_lo
	v_mul_hi_u32 v14, v5, v4
	v_mad_u64_u32 v[10:11], null, v6, v4, 0
	v_mad_u64_u32 v[7:8], null, v5, v12, 0
	;; [unrolled: 1-line block ×3, first 2 shown]
	v_add_co_u32 v4, vcc_lo, v14, v7
	v_add_co_ci_u32_e32 v7, vcc_lo, 0, v8, vcc_lo
	v_add_co_u32 v4, vcc_lo, v4, v10
	v_add_co_ci_u32_e32 v4, vcc_lo, v7, v11, vcc_lo
	v_add_co_ci_u32_e32 v7, vcc_lo, 0, v13, vcc_lo
	v_add_co_u32 v4, vcc_lo, v4, v12
	v_add_co_ci_u32_e32 v10, vcc_lo, 0, v7, vcc_lo
	v_mul_lo_u32 v11, s21, v4
	v_mad_u64_u32 v[7:8], null, s20, v4, 0
	v_mul_lo_u32 v12, s20, v10
	v_sub_co_u32 v7, vcc_lo, v5, v7
	v_add3_u32 v8, v8, v12, v11
	v_sub_nc_u32_e32 v11, v6, v8
	v_subrev_co_ci_u32_e64 v11, s0, s21, v11, vcc_lo
	v_add_co_u32 v12, s0, v4, 2
	v_add_co_ci_u32_e64 v13, s0, 0, v10, s0
	v_sub_co_u32 v14, s0, v7, s20
	v_sub_co_ci_u32_e32 v8, vcc_lo, v6, v8, vcc_lo
	v_subrev_co_ci_u32_e64 v11, s0, 0, v11, s0
	v_cmp_le_u32_e32 vcc_lo, s20, v14
	v_cmp_eq_u32_e64 s0, s21, v8
	v_cndmask_b32_e64 v14, 0, -1, vcc_lo
	v_cmp_le_u32_e32 vcc_lo, s21, v11
	v_cndmask_b32_e64 v15, 0, -1, vcc_lo
	v_cmp_le_u32_e32 vcc_lo, s20, v7
	;; [unrolled: 2-line block ×3, first 2 shown]
	v_cndmask_b32_e64 v16, 0, -1, vcc_lo
	v_cmp_eq_u32_e32 vcc_lo, s21, v11
	v_cndmask_b32_e64 v7, v16, v7, s0
	v_cndmask_b32_e32 v11, v15, v14, vcc_lo
	v_add_co_u32 v14, vcc_lo, v4, 1
	v_add_co_ci_u32_e32 v15, vcc_lo, 0, v10, vcc_lo
	v_cmp_ne_u32_e32 vcc_lo, 0, v11
	v_cndmask_b32_e32 v8, v15, v13, vcc_lo
	v_cndmask_b32_e32 v11, v14, v12, vcc_lo
	v_cmp_ne_u32_e32 vcc_lo, 0, v7
	v_cndmask_b32_e32 v8, v10, v8, vcc_lo
	v_cndmask_b32_e32 v7, v4, v11, vcc_lo
.LBB0_4:                                ;   in Loop: Header=BB0_2 Depth=1
	s_andn2_saveexec_b32 s0, s1
	s_cbranch_execz .LBB0_6
; %bb.5:                                ;   in Loop: Header=BB0_2 Depth=1
	v_cvt_f32_u32_e32 v4, s20
	s_sub_i32 s1, 0, s20
	v_rcp_iflag_f32_e32 v4, v4
	v_mul_f32_e32 v4, 0x4f7ffffe, v4
	v_cvt_u32_f32_e32 v4, v4
	v_mul_lo_u32 v7, s1, v4
	v_mul_hi_u32 v7, v4, v7
	v_add_nc_u32_e32 v4, v4, v7
	v_mul_hi_u32 v4, v5, v4
	v_mul_lo_u32 v7, v4, s20
	v_add_nc_u32_e32 v8, 1, v4
	v_sub_nc_u32_e32 v7, v5, v7
	v_subrev_nc_u32_e32 v10, s20, v7
	v_cmp_le_u32_e32 vcc_lo, s20, v7
	v_cndmask_b32_e32 v7, v7, v10, vcc_lo
	v_cndmask_b32_e32 v4, v4, v8, vcc_lo
	v_cmp_le_u32_e32 vcc_lo, s20, v7
	v_add_nc_u32_e32 v8, 1, v4
	v_cndmask_b32_e32 v7, v4, v8, vcc_lo
	v_mov_b32_e32 v8, v3
.LBB0_6:                                ;   in Loop: Header=BB0_2 Depth=1
	s_or_b32 exec_lo, exec_lo, s0
	s_load_dwordx2 s[0:1], s[6:7], 0x0
	v_mul_lo_u32 v4, v8, s20
	v_mul_lo_u32 v12, v7, s21
	v_mad_u64_u32 v[10:11], null, v7, s20, 0
	s_add_u32 s18, s18, 1
	s_addc_u32 s19, s19, 0
	s_add_u32 s6, s6, 8
	s_addc_u32 s7, s7, 0
	;; [unrolled: 2-line block ×3, first 2 shown]
	v_add3_u32 v4, v11, v12, v4
	v_sub_co_u32 v5, vcc_lo, v5, v10
	v_sub_co_ci_u32_e32 v4, vcc_lo, v6, v4, vcc_lo
	s_waitcnt lgkmcnt(0)
	v_mul_lo_u32 v6, s1, v5
	v_mul_lo_u32 v4, s0, v4
	v_mad_u64_u32 v[1:2], null, s0, v5, v[1:2]
	v_cmp_ge_u64_e64 s0, s[18:19], s[10:11]
	s_and_b32 vcc_lo, exec_lo, s0
	v_add3_u32 v2, v6, v2, v4
	s_cbranch_vccnz .LBB0_9
; %bb.7:                                ;   in Loop: Header=BB0_2 Depth=1
	v_mov_b32_e32 v5, v7
	v_mov_b32_e32 v6, v8
	s_branch .LBB0_2
.LBB0_8:
	v_mov_b32_e32 v8, v6
	v_mov_b32_e32 v7, v5
.LBB0_9:
	s_lshl_b64 s[0:1], s[10:11], 3
	v_mov_b32_e32 v6, 0
	s_add_u32 s0, s14, s0
	s_addc_u32 s1, s15, s1
                                        ; implicit-def: $vgpr33
                                        ; implicit-def: $vgpr19
                                        ; implicit-def: $vgpr32
                                        ; implicit-def: $vgpr21
                                        ; implicit-def: $vgpr31
                                        ; implicit-def: $vgpr22
                                        ; implicit-def: $vgpr29
                                        ; implicit-def: $vgpr23
                                        ; implicit-def: $vgpr28
                                        ; implicit-def: $vgpr24
                                        ; implicit-def: $vgpr26
                                        ; implicit-def: $vgpr25
                                        ; implicit-def: $vgpr20
                                        ; implicit-def: $vgpr27
                                        ; implicit-def: $vgpr18
                                        ; implicit-def: $vgpr30
                                        ; implicit-def: $vgpr17
                                        ; implicit-def: $vgpr34
                                        ; implicit-def: $vgpr16
                                        ; implicit-def: $vgpr35
                                        ; implicit-def: $vgpr12
                                        ; implicit-def: $vgpr36
                                        ; implicit-def: $vgpr37
	s_load_dwordx2 s[0:1], s[0:1], 0x0
	s_load_dwordx2 s[4:5], s[4:5], 0x20
	s_waitcnt lgkmcnt(0)
	v_mul_lo_u32 v3, s0, v8
	v_mul_lo_u32 v4, s1, v7
	v_mad_u64_u32 v[1:2], null, s0, v7, v[1:2]
	v_cmp_gt_u64_e32 vcc_lo, s[4:5], v[7:8]
	v_and_b32_e32 v8, 15, v0
                                        ; implicit-def: $vgpr7
	v_add3_u32 v2, v4, v2, v3
	v_lshlrev_b64 v[4:5], 2, v[1:2]
	s_and_saveexec_b32 s1, vcc_lo
	s_cbranch_execz .LBB0_11
; %bb.10:
	v_or_b32_e32 v12, 16, v8
	v_mad_u64_u32 v[0:1], null, s2, v8, 0
	v_or_b32_e32 v14, 32, v8
	v_or_b32_e32 v16, 48, v8
	v_mad_u64_u32 v[2:3], null, s2, v12, 0
	v_or_b32_e32 v17, 64, v8
	v_mad_u64_u32 v[10:11], null, s2, v14, 0
	v_or_b32_e32 v22, 0x50, v8
	v_or_b32_e32 v23, 0x60, v8
	;; [unrolled: 1-line block ×3, first 2 shown]
	v_mad_u64_u32 v[6:7], null, s3, v8, v[1:2]
	v_mov_b32_e32 v1, v3
	v_mad_u64_u32 v[18:19], null, s2, v23, 0
	v_mad_u64_u32 v[20:21], null, s2, v24, 0
	;; [unrolled: 1-line block ×3, first 2 shown]
	v_mov_b32_e32 v1, v6
	v_mov_b32_e32 v6, v11
	v_add_co_u32 v38, s0, s12, v4
	v_add_co_ci_u32_e64 v39, s0, s13, v5, s0
	v_mov_b32_e32 v3, v12
	v_mad_u64_u32 v[12:13], null, s2, v16, 0
	v_mad_u64_u32 v[6:7], null, s3, v14, v[6:7]
	;; [unrolled: 1-line block ×3, first 2 shown]
	v_lshlrev_b64 v[0:1], 2, v[0:1]
	v_lshlrev_b64 v[2:3], 2, v[2:3]
	v_mov_b32_e32 v7, v13
	v_or_b32_e32 v27, 0xa0, v8
	v_mov_b32_e32 v11, v6
	v_or_b32_e32 v40, 0xb0, v8
	v_add_co_u32 v0, s0, v38, v0
	v_mad_u64_u32 v[6:7], null, s3, v16, v[7:8]
	v_mov_b32_e32 v7, v15
	v_lshlrev_b64 v[10:11], 2, v[10:11]
	v_add_co_ci_u32_e64 v1, s0, v39, v1, s0
	v_add_co_u32 v2, s0, v38, v2
	v_mov_b32_e32 v13, v6
	v_mad_u64_u32 v[6:7], null, s3, v17, v[7:8]
	v_mad_u64_u32 v[16:17], null, s2, v22, 0
	v_lshlrev_b64 v[12:13], 2, v[12:13]
	v_add_co_ci_u32_e64 v3, s0, v39, v3, s0
	v_add_co_u32 v10, s0, v38, v10
	v_mov_b32_e32 v15, v6
	v_mov_b32_e32 v6, v17
	v_add_co_ci_u32_e64 v11, s0, v39, v11, s0
	v_add_co_u32 v12, s0, v38, v12
	v_mad_u64_u32 v[6:7], null, s3, v22, v[6:7]
	v_mov_b32_e32 v7, v19
	v_mov_b32_e32 v19, v21
	v_lshlrev_b64 v[14:15], 2, v[14:15]
	v_add_co_ci_u32_e64 v13, s0, v39, v13, s0
	v_mad_u64_u32 v[30:31], null, s2, v27, 0
	v_mov_b32_e32 v17, v6
	v_mad_u64_u32 v[6:7], null, s3, v23, v[7:8]
	v_mad_u64_u32 v[21:22], null, s3, v24, v[19:20]
	v_or_b32_e32 v24, 0x90, v8
	v_lshlrev_b64 v[16:17], 2, v[16:17]
	v_add_co_u32 v14, s0, v38, v14
	v_mov_b32_e32 v19, v6
	v_mad_u64_u32 v[28:29], null, s2, v24, 0
	v_or_b32_e32 v22, 0x80, v8
	v_add_co_ci_u32_e64 v15, s0, v39, v15, s0
	v_lshlrev_b64 v[18:19], 2, v[18:19]
	v_add_co_u32 v16, s0, v38, v16
	v_add_co_ci_u32_e64 v17, s0, v39, v17, s0
	v_lshlrev_b64 v[20:21], 2, v[20:21]
	v_mad_u64_u32 v[6:7], null, s2, v22, 0
	v_add_co_u32 v25, s0, v38, v18
	v_add_co_ci_u32_e64 v26, s0, v39, v19, s0
	v_mov_b32_e32 v18, v29
	v_mov_b32_e32 v19, v31
	v_add_co_u32 v32, s0, v38, v20
	v_add_co_ci_u32_e64 v33, s0, v39, v21, s0
	v_mad_u64_u32 v[20:21], null, s3, v24, v[18:19]
	v_mad_u64_u32 v[22:23], null, s3, v22, v[7:8]
	;; [unrolled: 1-line block ×3, first 2 shown]
	v_or_b32_e32 v41, 0xc0, v8
	v_mad_u64_u32 v[18:19], null, s3, v27, v[19:20]
	v_mov_b32_e32 v7, v22
	v_mad_u64_u32 v[36:37], null, s2, v41, 0
	s_clause 0x6
	global_load_dword v19, v[2:3], off
	global_load_dword v21, v[10:11], off
	;; [unrolled: 1-line block ×7, first 2 shown]
	v_mov_b32_e32 v2, v35
	v_mov_b32_e32 v29, v20
	v_lshlrev_b64 v[6:7], 2, v[6:7]
	v_mov_b32_e32 v31, v18
	v_mad_u64_u32 v[2:3], null, s3, v40, v[2:3]
	v_mov_b32_e32 v3, v37
	v_lshlrev_b64 v[10:11], 2, v[28:29]
	v_add_co_u32 v6, s0, v38, v6
	v_add_co_ci_u32_e64 v7, s0, v39, v7, s0
	v_mad_u64_u32 v[12:13], null, s3, v41, v[3:4]
	v_lshlrev_b64 v[13:14], 2, v[30:31]
	v_mov_b32_e32 v35, v2
	v_add_co_u32 v2, s0, v38, v10
	v_add_co_ci_u32_e64 v3, s0, v39, v11, s0
	v_mov_b32_e32 v37, v12
	v_lshlrev_b64 v[10:11], 2, v[34:35]
	v_add_co_u32 v12, s0, v38, v13
	v_add_co_ci_u32_e64 v13, s0, v39, v14, s0
	v_lshlrev_b64 v[14:15], 2, v[36:37]
	v_add_co_u32 v10, s0, v38, v10
	v_add_co_ci_u32_e64 v11, s0, v39, v11, s0
	v_add_co_u32 v14, s0, v38, v14
	v_add_co_ci_u32_e64 v15, s0, v39, v15, s0
	s_clause 0x5
	global_load_dword v30, v[6:7], off
	global_load_dword v34, v[2:3], off
	;; [unrolled: 1-line block ×6, first 2 shown]
	s_waitcnt vmcnt(12)
	v_lshrrev_b32_e32 v33, 16, v19
	s_waitcnt vmcnt(11)
	v_lshrrev_b32_e32 v32, 16, v21
	;; [unrolled: 2-line block ×12, first 2 shown]
.LBB0_11:
	s_or_b32 exec_lo, exec_lo, s1
	s_waitcnt vmcnt(0)
	v_add_f16_e32 v0, v19, v6
	v_sub_f16_e32 v2, v33, v7
	v_mul_u32_u24_e32 v38, 0xd0, v9
	v_add_f16_e32 v1, v19, v37
	v_sub_f16_e32 v11, v32, v12
	v_add_f16_e32 v0, v21, v0
	v_pk_mul_f16 v9, 0xba95b770, v2 op_sel_hi:[1,0]
	v_add_f16_e32 v3, v21, v36
	v_sub_f16_e32 v14, v31, v16
	v_pk_mul_f16 v10, 0xbb7bba95, v11 op_sel_hi:[1,0]
	v_add_f16_e32 v0, v22, v0
	v_pk_fma_f16 v50, 0x388b3b15, v1, v9 op_sel_hi:[1,0,1]
	v_add_f16_e32 v13, v22, v35
	v_sub_f16_e32 v39, v29, v17
	v_pk_mul_f16 v44, 0xb3a8bbf1, v14 op_sel_hi:[1,0]
	v_add_f16_e32 v0, v23, v0
	v_pk_fma_f16 v52, 0xb5ac388b, v3, v10 op_sel_hi:[1,0,1]
	v_pk_add_f16 v50, v50, v6 op_sel_hi:[1,0]
	v_add_f16_e32 v15, v23, v34
	v_sub_f16_e32 v41, v28, v18
	v_add_f16_e32 v0, v24, v0
	v_pk_mul_f16 v45, 0x394ebb7b, v39 op_sel_hi:[1,0]
	v_pk_fma_f16 v53, 0xbbc42fb7, v13, v44 op_sel_hi:[1,0,1]
	v_pk_fma_f16 v9, 0x388b3b15, v1, v9 op_sel_hi:[1,0,1] neg_lo:[0,0,1] neg_hi:[0,0,1]
	v_pk_add_f16 v50, v52, v50
	v_add_f16_e32 v0, v25, v0
	v_add_f16_e32 v40, v24, v30
	v_sub_f16_e32 v43, v26, v20
	v_pk_mul_f16 v46, 0x3bf1b94e, v41 op_sel_hi:[1,0]
	v_pk_mul_f16 v48, 0xbb7bbbf1, v2 op_sel_hi:[1,0]
	v_add_f16_e32 v0, v27, v0
	v_pk_fma_f16 v54, 0xb9fdb5ac, v15, v45 op_sel_hi:[1,0,1]
	v_pk_fma_f16 v10, 0xb5ac388b, v3, v10 op_sel_hi:[1,0,1] neg_lo:[0,0,1] neg_hi:[0,0,1]
	v_pk_add_f16 v9, v9, v6 op_sel_hi:[1,0]
	v_pk_add_f16 v50, v53, v50
	v_add_f16_e32 v0, v30, v0
	v_add_f16_e32 v42, v25, v27
	v_pk_mul_f16 v47, 0x3770b3a8, v43 op_sel_hi:[1,0]
	v_pk_mul_f16 v49, 0x394eb3a8, v11 op_sel_hi:[1,0]
	v_pk_fma_f16 v55, 0x2fb7b9fd, v40, v46 op_sel_hi:[1,0,1]
	v_add_f16_e32 v0, v34, v0
	v_pk_fma_f16 v44, 0xbbc42fb7, v13, v44 op_sel_hi:[1,0,1] neg_lo:[0,0,1] neg_hi:[0,0,1]
	v_pk_add_f16 v9, v10, v9
	v_pk_fma_f16 v10, 0xb9fdb5ac, v15, v45 op_sel_hi:[1,0,1] neg_lo:[0,0,1] neg_hi:[0,0,1]
	v_pk_add_f16 v45, v54, v50
	v_add_f16_e32 v0, v35, v0
	v_pk_fma_f16 v50, 0xb5ac2fb7, v1, v48 op_sel_hi:[1,0,1]
	v_pk_mul_f16 v51, 0x37703b7b, v14 op_sel_hi:[1,0]
	v_pk_fma_f16 v52, 0x3b15bbc4, v42, v47 op_sel_hi:[1,0,1]
	v_pk_add_f16 v9, v44, v9
	v_add_f16_e32 v0, v36, v0
	v_pk_fma_f16 v44, 0xb9fdbbc4, v3, v49 op_sel_hi:[1,0,1]
	v_pk_add_f16 v45, v55, v45
	v_pk_add_f16 v50, v50, v6 op_sel_hi:[1,0]
	v_pk_add_f16 v10, v10, v9
	v_add_f16_e32 v9, v37, v0
	v_pk_fma_f16 v46, 0x2fb7b9fd, v40, v46 op_sel_hi:[1,0,1] neg_lo:[0,0,1] neg_hi:[0,0,1]
	v_pk_add_f16 v0, v52, v45
	v_pk_add_f16 v44, v44, v50
	v_pk_fma_f16 v45, 0x3b15b5ac, v13, v51 op_sel_hi:[1,0,1]
	v_pk_mul_f16 v50, 0xbbf13770, v39 op_sel_hi:[1,0]
	v_pk_add_f16 v10, v46, v10
	v_pk_fma_f16 v46, 0x3b15bbc4, v42, v47 op_sel_hi:[1,0,1] neg_lo:[0,0,1] neg_hi:[0,0,1]
	v_pk_fma_f16 v47, 0xb5ac2fb7, v1, v48 op_sel_hi:[1,0,1] neg_lo:[0,0,1] neg_hi:[0,0,1]
	v_pk_add_f16 v44, v45, v44
	v_pk_fma_f16 v45, 0x2fb73b15, v15, v50 op_sel_hi:[1,0,1]
	v_pk_mul_f16 v48, 0x33a8ba95, v41 op_sel_hi:[1,0]
	v_pk_mul_f16 v2, 0xb3a8b94e, v2 op_sel_hi:[1,0]
	;; [unrolled: 1-line block ×3, first 2 shown]
	v_pk_add_f16 v10, v46, v10
	v_pk_add_f16 v44, v45, v44
	v_pk_fma_f16 v45, 0xbbc4388b, v40, v48 op_sel_hi:[1,0,1]
	v_pk_add_f16 v46, v47, v6 op_sel_hi:[1,0]
	v_pk_fma_f16 v47, 0xb9fdbbc4, v3, v49 op_sel_hi:[1,0,1] neg_lo:[0,0,1] neg_hi:[0,0,1]
	v_pk_mul_f16 v14, 0xb94eba95, v14 op_sel_hi:[1,0]
	v_pk_mul_f16 v39, 0x3a9533a8, v39 op_sel_hi:[1,0]
	v_pk_add_f16 v44, v45, v44
	v_pk_fma_f16 v45, 0xbbc4b9fd, v1, v2 op_sel_hi:[1,0,1] neg_lo:[0,0,1] neg_hi:[0,0,1]
	v_pk_fma_f16 v1, 0xbbc4b9fd, v1, v2 op_sel_hi:[1,0,1]
	v_pk_add_f16 v46, v47, v46
	v_pk_fma_f16 v47, 0x3b15b5ac, v13, v51 op_sel_hi:[1,0,1] neg_lo:[0,0,1] neg_hi:[0,0,1]
	v_pk_mul_f16 v49, 0x3a95b94e, v43 op_sel_hi:[1,0]
	v_pk_add_f16 v2, v45, v6 op_sel_hi:[1,0]
	v_pk_fma_f16 v45, 0x3b152fb7, v3, v11 op_sel_hi:[1,0,1] neg_lo:[0,0,1] neg_hi:[0,0,1]
	v_pk_add_f16 v1, v1, v6 op_sel_hi:[1,0]
	v_pk_fma_f16 v3, 0x3b152fb7, v3, v11 op_sel_hi:[1,0,1]
	v_pk_fma_f16 v11, 0xb9fd388b, v13, v14 op_sel_hi:[1,0,1] neg_lo:[0,0,1] neg_hi:[0,0,1]
	v_pk_add_f16 v46, v47, v46
	v_pk_add_f16 v2, v45, v2
	v_pk_fma_f16 v47, 0x2fb73b15, v15, v50 op_sel_hi:[1,0,1] neg_lo:[0,0,1] neg_hi:[0,0,1]
	v_pk_add_f16 v1, v3, v1
	v_pk_fma_f16 v3, 0xb9fd388b, v13, v14 op_sel_hi:[1,0,1]
	v_pk_mul_f16 v13, 0xbb7b3770, v41 op_sel_hi:[1,0]
	v_pk_add_f16 v2, v11, v2
	v_pk_fma_f16 v11, 0x388bbbc4, v15, v39 op_sel_hi:[1,0,1] neg_lo:[0,0,1] neg_hi:[0,0,1]
	v_pk_add_f16 v45, v47, v46
	v_pk_fma_f16 v14, 0xbbc4388b, v40, v48 op_sel_hi:[1,0,1] neg_lo:[0,0,1] neg_hi:[0,0,1]
	v_pk_add_f16 v1, v3, v1
	v_pk_fma_f16 v3, 0x388bbbc4, v15, v39 op_sel_hi:[1,0,1]
	v_pk_add_f16 v2, v11, v2
	v_pk_fma_f16 v11, 0xb5ac3b15, v40, v13 op_sel_hi:[1,0,1] neg_lo:[0,0,1] neg_hi:[0,0,1]
	v_pk_mul_f16 v15, 0x3bf1bb7b, v43 op_sel_hi:[1,0]
	v_pk_add_f16 v14, v14, v45
	v_pk_add_f16 v1, v3, v1
	v_pk_fma_f16 v3, 0xb5ac3b15, v40, v13 op_sel_hi:[1,0,1]
	v_pk_add_f16 v2, v11, v2
	v_pk_fma_f16 v11, 0x2fb7b5ac, v42, v15 op_sel_hi:[1,0,1] neg_lo:[0,0,1] neg_hi:[0,0,1]
	v_pk_fma_f16 v13, 0x388bb9fd, v42, v49 op_sel_hi:[1,0,1] neg_lo:[0,0,1] neg_hi:[0,0,1]
	v_pk_fma_f16 v51, 0x388bb9fd, v42, v49 op_sel_hi:[1,0,1]
	v_mad_u32_u24 v41, v8, 26, 0
	v_pk_add_f16 v3, v3, v1
	v_pk_fma_f16 v39, 0x2fb7b5ac, v42, v15 op_sel_hi:[1,0,1]
	v_pk_add_f16 v15, v11, v2
	v_pk_add_f16 v11, v13, v14
	;; [unrolled: 1-line block ×3, first 2 shown]
	v_lshl_add_u32 v40, v38, 1, v41
	v_pk_add_f16 v2, v39, v3
	v_alignbit_b32 v3, v15, v15, 16
	v_alignbit_b32 v13, v11, v11, 16
	;; [unrolled: 1-line block ×3, first 2 shown]
	v_cmp_gt_u32_e64 s0, 13, v8
	v_lshlrev_b32_e32 v38, 1, v38
	v_lshlrev_b32_e32 v39, 1, v8
	ds_write_b16 v40, v9
	ds_write_b128 v40, v[0:3] offset:2
	ds_write_b64 v40, v[13:14] offset:18
	s_waitcnt lgkmcnt(0)
	s_barrier
	buffer_gl0_inv
                                        ; implicit-def: $vgpr14
                                        ; implicit-def: $vgpr3
                                        ; implicit-def: $vgpr13
	s_and_saveexec_b32 s1, s0
	s_cbranch_execz .LBB0_13
; %bb.12:
	v_mul_i32_i24_e32 v0, 0xffffffe8, v8
	v_add3_u32 v3, 0, v38, v39
	v_add3_u32 v14, v41, v0, v38
	ds_read_u16 v10, v14 offset:312
	ds_read_u16 v15, v14 offset:208
	;; [unrolled: 1-line block ×6, first 2 shown]
	ds_read_u16 v9, v3
	s_waitcnt lgkmcnt(6)
	ds_read_u16_d16_hi v10, v14 offset:286
	ds_read_u16 v13, v14 offset:390
	s_waitcnt lgkmcnt(7)
	ds_read_u16_d16_hi v15, v14 offset:182
	ds_read_u16 v3, v14 offset:364
	s_waitcnt lgkmcnt(8)
	ds_read_u16_d16_hi v0, v14 offset:52
	s_waitcnt lgkmcnt(8)
	ds_read_u16_d16_hi v1, v14 offset:104
	;; [unrolled: 2-line block ×4, first 2 shown]
	ds_read_u16 v14, v14 offset:338
.LBB0_13:
	s_or_b32 exec_lo, exec_lo, s1
	v_add_f16_sdwa v41, v33, v6 dst_sel:DWORD dst_unused:UNUSED_PAD src0_sel:DWORD src1_sel:WORD_1
	v_sub_f16_e32 v19, v19, v37
	v_add_f16_e32 v37, v32, v12
	v_sub_f16_e32 v21, v21, v36
	v_add_f16_e32 v36, v31, v16
	v_add_f16_e32 v32, v32, v41
	v_sub_f16_e32 v25, v25, v27
	v_add_f16_e32 v33, v33, v7
	v_sub_f16_e32 v22, v22, v35
	v_add_f16_e32 v35, v29, v17
	v_add_f16_e32 v31, v31, v32
	v_sub_f16_e32 v24, v24, v30
	v_add_f16_e32 v30, v26, v20
	v_sub_f16_e32 v23, v23, v34
	v_add_f16_e32 v32, v28, v18
	v_add_f16_e32 v27, v29, v31
	v_pk_mul_f16 v29, 0xba95bbf1, v19 op_sel_hi:[1,0]
	v_pk_mul_f16 v31, 0xbb7bb3a8, v21 op_sel_hi:[1,0]
	;; [unrolled: 1-line block ×4, first 2 shown]
	v_add_f16_e32 v27, v28, v27
	v_pk_fma_f16 v45, 0x388b2fb7, v33, v29 op_sel_hi:[1,0,1]
	v_pk_fma_f16 v29, 0x388b2fb7, v33, v29 op_sel_hi:[1,0,1] neg_lo:[0,0,1] neg_hi:[0,0,1]
	v_pk_fma_f16 v46, 0xb5acbbc4, v37, v31 op_sel_hi:[1,0,1]
	v_pk_fma_f16 v31, 0xb5acbbc4, v37, v31 op_sel_hi:[1,0,1] neg_lo:[0,0,1] neg_hi:[0,0,1]
	v_add_f16_e32 v26, v26, v27
	v_pk_add_f16 v45, v45, v6 op_sel:[0,1]
	v_pk_add_f16 v29, v29, v6 op_sel:[0,1]
	v_pk_mul_f16 v28, 0x3bf1ba95, v24 op_sel_hi:[1,0]
	v_pk_mul_f16 v43, 0xbb7bb94e, v19 op_sel_hi:[1,0]
	v_add_f16_e32 v20, v20, v26
	v_pk_fma_f16 v26, 0xbbc4b5ac, v36, v34 op_sel_hi:[1,0,1]
	v_pk_fma_f16 v34, 0xbbc4b5ac, v36, v34 op_sel_hi:[1,0,1] neg_lo:[0,0,1] neg_hi:[0,0,1]
	v_pk_add_f16 v45, v46, v45
	v_pk_add_f16 v29, v31, v29
	v_add_f16_e32 v18, v18, v20
	v_pk_mul_f16 v44, 0x394e3bf1, v21 op_sel_hi:[1,0]
	v_pk_fma_f16 v20, 0xb9fd3b15, v35, v41 op_sel_hi:[1,0,1]
	v_pk_fma_f16 v31, 0xb9fd3b15, v35, v41 op_sel_hi:[1,0,1] neg_lo:[0,0,1] neg_hi:[0,0,1]
	v_pk_add_f16 v26, v26, v45
	v_add_f16_e32 v17, v17, v18
	v_pk_fma_f16 v18, 0x2fb7388b, v32, v28 op_sel_hi:[1,0,1]
	v_pk_add_f16 v29, v34, v29
	v_pk_mul_f16 v42, 0x3770b94e, v25 op_sel_hi:[1,0]
	v_pk_mul_f16 v27, 0x3770ba95, v22 op_sel_hi:[1,0]
	v_add_f16_e32 v16, v16, v17
	v_pk_fma_f16 v17, 0x2fb7388b, v32, v28 op_sel_hi:[1,0,1] neg_lo:[0,0,1] neg_hi:[0,0,1]
	v_pk_fma_f16 v28, 0xb5acb9fd, v33, v43 op_sel_hi:[1,0,1]
	v_pk_add_f16 v20, v20, v26
	v_pk_add_f16 v26, v31, v29
	v_add_f16_e32 v12, v12, v16
	v_pk_fma_f16 v16, 0xb9fd2fb7, v37, v44 op_sel_hi:[1,0,1]
	v_pk_add_f16 v28, v28, v6 op_sel:[0,1]
	v_pk_add_f16 v18, v18, v20
	v_pk_add_f16 v17, v17, v26
	v_add_f16_e32 v12, v7, v12
	v_pk_fma_f16 v7, 0x3b15b9fd, v30, v42 op_sel_hi:[1,0,1] neg_lo:[0,0,1] neg_hi:[0,0,1]
	v_pk_add_f16 v20, v16, v28
	v_pk_fma_f16 v26, 0x3b15388b, v36, v27 op_sel_hi:[1,0,1]
	v_pk_mul_f16 v28, 0xbbf133a8, v23 op_sel_hi:[1,0]
	v_pk_fma_f16 v29, 0xb5acb9fd, v33, v43 op_sel_hi:[1,0,1] neg_lo:[0,0,1] neg_hi:[0,0,1]
	v_pk_fma_f16 v31, 0x3b15b9fd, v30, v42 op_sel_hi:[1,0,1]
	v_pk_add_f16 v16, v7, v17
	v_pk_add_f16 v17, v26, v20
	v_pk_fma_f16 v20, 0x2fb7bbc4, v35, v28 op_sel_hi:[1,0,1]
	v_pk_add_f16 v26, v29, v6 op_sel:[0,1]
	v_pk_fma_f16 v29, 0xb9fd2fb7, v37, v44 op_sel_hi:[1,0,1] neg_lo:[0,0,1] neg_hi:[0,0,1]
	v_pk_add_f16 v7, v31, v18
	v_pk_mul_f16 v18, 0xb3a8b770, v19 op_sel_hi:[1,0]
	v_pk_add_f16 v19, v20, v17
	v_pk_mul_f16 v21, 0x3770ba95, v21 op_sel_hi:[1,0]
	v_pk_add_f16 v20, v29, v26
	v_pk_fma_f16 v26, 0x3b15388b, v36, v27 op_sel_hi:[1,0,1] neg_lo:[0,0,1] neg_hi:[0,0,1]
	v_pk_fma_f16 v27, 0xbbc43b15, v33, v18 op_sel_hi:[1,0,1] neg_lo:[0,0,1] neg_hi:[0,0,1]
	v_pk_fma_f16 v18, 0xbbc43b15, v33, v18 op_sel_hi:[1,0,1]
	v_pk_fma_f16 v31, 0x3b15388b, v37, v21 op_sel_hi:[1,0,1] neg_lo:[0,0,1] neg_hi:[0,0,1]
	v_pk_fma_f16 v21, 0x3b15388b, v37, v21 op_sel_hi:[1,0,1]
	v_pk_add_f16 v20, v26, v20
	v_add_f16_sdwa v26, v27, v6 dst_sel:DWORD dst_unused:UNUSED_PAD src0_sel:WORD_1 src1_sel:WORD_1
	v_pk_add_f16 v18, v18, v6 op_sel:[0,1]
	v_pk_mul_f16 v22, 0xb94ebbf1, v22 op_sel_hi:[1,0]
	v_add_f16_sdwa v6, v27, v6 dst_sel:DWORD dst_unused:UNUSED_PAD src0_sel:DWORD src1_sel:WORD_1
	v_pk_mul_f16 v23, 0x3a95bb7b, v23 op_sel_hi:[1,0]
	v_add_f16_sdwa v26, v31, v26 dst_sel:DWORD dst_unused:UNUSED_PAD src0_sel:WORD_1 src1_sel:DWORD
	v_pk_add_f16 v18, v21, v18
	v_pk_fma_f16 v21, 0xb9fd2fb7, v36, v22 op_sel_hi:[1,0,1] neg_lo:[0,0,1] neg_hi:[0,0,1]
	v_pk_fma_f16 v22, 0xb9fd2fb7, v36, v22 op_sel_hi:[1,0,1]
	v_add_f16_e32 v6, v31, v6
	v_pk_mul_f16 v17, 0x33a83770, v24 op_sel_hi:[1,0]
	v_pk_fma_f16 v28, 0x2fb7bbc4, v35, v28 op_sel_hi:[1,0,1] neg_lo:[0,0,1] neg_hi:[0,0,1]
	v_add_f16_sdwa v26, v21, v26 dst_sel:DWORD dst_unused:UNUSED_PAD src0_sel:WORD_1 src1_sel:DWORD
	v_pk_add_f16 v18, v22, v18
	v_pk_fma_f16 v22, 0x388bb5ac, v35, v23 op_sel_hi:[1,0,1] neg_lo:[0,0,1] neg_hi:[0,0,1]
	v_pk_fma_f16 v23, 0x388bb5ac, v35, v23 op_sel_hi:[1,0,1]
	v_pk_mul_f16 v24, 0xbb7bb94e, v24 op_sel_hi:[1,0]
	v_add_f16_e32 v6, v21, v6
	v_pk_mul_f16 v29, 0x3a95bb7b, v25 op_sel_hi:[1,0]
	v_pk_add_f16 v20, v28, v20
	v_pk_fma_f16 v27, 0xbbc43b15, v32, v17 op_sel_hi:[1,0,1] neg_lo:[0,0,1] neg_hi:[0,0,1]
	v_add_f16_sdwa v21, v22, v26 dst_sel:DWORD dst_unused:UNUSED_PAD src0_sel:WORD_1 src1_sel:DWORD
	v_pk_add_f16 v18, v23, v18
	v_pk_fma_f16 v23, 0xb5acb9fd, v32, v24 op_sel_hi:[1,0,1] neg_lo:[0,0,1] neg_hi:[0,0,1]
	v_pk_fma_f16 v24, 0xb5acb9fd, v32, v24 op_sel_hi:[1,0,1]
	v_pk_mul_f16 v25, 0x3bf1b3a8, v25 op_sel_hi:[1,0]
	v_add_f16_e32 v6, v22, v6
	v_pk_add_f16 v20, v27, v20
	v_add_f16_sdwa v21, v23, v21 dst_sel:DWORD dst_unused:UNUSED_PAD src0_sel:WORD_1 src1_sel:DWORD
	v_pk_add_f16 v18, v24, v18
	v_pk_fma_f16 v24, 0x2fb7bbc4, v30, v25 op_sel_hi:[1,0,1] neg_lo:[0,0,1] neg_hi:[0,0,1]
	v_pk_fma_f16 v22, 0x2fb7bbc4, v30, v25 op_sel_hi:[1,0,1]
	v_pk_fma_f16 v25, 0x388bb5ac, v30, v29 op_sel_hi:[1,0,1] neg_lo:[0,0,1] neg_hi:[0,0,1]
	v_pk_fma_f16 v26, 0xbbc43b15, v32, v17 op_sel_hi:[1,0,1]
	v_add_f16_e32 v6, v23, v6
	v_add_f16_sdwa v23, v24, v21 dst_sel:DWORD dst_unused:UNUSED_PAD src0_sel:WORD_1 src1_sel:DWORD
	v_pk_add_f16 v17, v22, v18
	v_pk_add_f16 v22, v25, v20
	;; [unrolled: 1-line block ×3, first 2 shown]
	v_add_f16_e32 v21, v24, v6
	v_pk_fma_f16 v6, 0x388bb5ac, v30, v29 op_sel_hi:[1,0,1]
	v_bfi_b32 v27, 0xffff, v23, v17
	v_alignbit_b32 v26, v22, v22, 16
	v_alignbit_b32 v25, v16, v16, 16
	v_pack_b32_f16 v24, v12, v21
	v_pk_add_f16 v6, v6, v18
	s_waitcnt lgkmcnt(0)
	s_barrier
	buffer_gl0_inv
	ds_write_b128 v40, v[24:27]
	ds_write_b64 v40, v[6:7] offset:16
	ds_write_b16 v40, v17 offset:24
	s_waitcnt lgkmcnt(0)
	s_barrier
	buffer_gl0_inv
                                        ; implicit-def: $vgpr19
                                        ; implicit-def: $vgpr18
                                        ; implicit-def: $vgpr20
	s_and_saveexec_b32 s1, s0
	s_cbranch_execnz .LBB0_16
; %bb.14:
	s_or_b32 exec_lo, exec_lo, s1
	s_and_b32 s0, vcc_lo, s0
	s_and_saveexec_b32 s1, s0
	s_cbranch_execnz .LBB0_17
.LBB0_15:
	s_endpgm
.LBB0_16:
	v_add3_u32 v19, 0, v39, v38
	v_add3_u32 v12, 0, v38, v39
	ds_read_u16 v17, v19 offset:312
	ds_read_u16 v16, v19 offset:78
	;; [unrolled: 1-line block ×5, first 2 shown]
	s_waitcnt lgkmcnt(4)
	ds_read_u16_d16_hi v17, v19 offset:182
	ds_read_u16 v18, v19 offset:364
	ds_read_u16 v12, v12
	ds_read_u16 v21, v19 offset:26
	s_waitcnt lgkmcnt(7)
	ds_read_u16_d16_hi v16, v19 offset:52
	s_waitcnt lgkmcnt(7)
	ds_read_u16_d16_hi v22, v19 offset:104
	ds_read_u16 v23, v19 offset:156
	s_waitcnt lgkmcnt(8)
	ds_read_u16_d16_hi v7, v19 offset:286
	ds_read_u16 v20, v19 offset:390
	;; [unrolled: 3-line block ×3, first 2 shown]
	s_or_b32 exec_lo, exec_lo, s1
	s_and_b32 s0, vcc_lo, s0
	s_and_saveexec_b32 s1, s0
	s_cbranch_execz .LBB0_15
.LBB0_17:
	v_mul_u32_u24_e32 v24, 15, v8
	s_waitcnt lgkmcnt(10)
	v_lshrrev_b32_e32 v46, 16, v17
	v_lshrrev_b32_e32 v45, 16, v15
	;; [unrolled: 1-line block ×4, first 2 shown]
	v_lshlrev_b32_e32 v36, 2, v24
	v_lshrrev_b32_e32 v51, 16, v2
	s_waitcnt lgkmcnt(5)
	v_lshrrev_b32_e32 v47, 16, v22
	v_lshrrev_b32_e32 v44, 16, v10
	s_waitcnt lgkmcnt(3)
	v_lshrrev_b32_e32 v43, 16, v7
	s_clause 0x3
	global_load_dwordx4 v[24:27], v36, s[8:9]
	global_load_dwordx4 v[28:31], v36, s[8:9] offset:16
	global_load_dwordx4 v[32:35], v36, s[8:9] offset:32
	global_load_dwordx3 v[36:38], v36, s[8:9] offset:48
	s_waitcnt lgkmcnt(1)
	v_lshrrev_b32_e32 v41, 16, v6
	v_lshrrev_b32_e32 v42, 16, v11
	;; [unrolled: 1-line block ×3, first 2 shown]
	v_add_nc_u32_e32 v59, 26, v8
	v_add_nc_u32_e32 v52, 13, v8
	;; [unrolled: 1-line block ×3, first 2 shown]
	v_mad_u64_u32 v[39:40], null, s2, v8, 0
	s_waitcnt vmcnt(3)
	v_mul_f16_sdwa v55, v16, v26 dst_sel:DWORD dst_unused:UNUSED_PAD src0_sel:DWORD src1_sel:WORD_1
	s_waitcnt vmcnt(2)
	v_mul_f16_sdwa v54, v22, v28 dst_sel:DWORD dst_unused:UNUSED_PAD src0_sel:DWORD src1_sel:WORD_1
	v_mul_f16_sdwa v56, v21, v24 dst_sel:DWORD dst_unused:UNUSED_PAD src0_sel:DWORD src1_sel:WORD_1
	v_mul_f16_sdwa v58, v46, v30 dst_sel:DWORD dst_unused:UNUSED_PAD src0_sel:DWORD src1_sel:WORD_1
	v_mul_f16_sdwa v53, v0, v24 dst_sel:DWORD dst_unused:UNUSED_PAD src0_sel:DWORD src1_sel:WORD_1
	v_mul_f16_sdwa v57, v1, v26 dst_sel:DWORD dst_unused:UNUSED_PAD src0_sel:DWORD src1_sel:WORD_1
	v_fmac_f16_e32 v54, v2, v28
	v_fmac_f16_e32 v55, v1, v26
	;; [unrolled: 1-line block ×3, first 2 shown]
	v_mul_f16_sdwa v0, v2, v28 dst_sel:DWORD dst_unused:UNUSED_PAD src0_sel:DWORD src1_sel:WORD_1
	v_mul_f16_sdwa v1, v45, v30 dst_sel:DWORD dst_unused:UNUSED_PAD src0_sel:DWORD src1_sel:WORD_1
	v_fmac_f16_e32 v58, v45, v30
	v_mul_f16_sdwa v45, v6, v31 dst_sel:DWORD dst_unused:UNUSED_PAD src0_sel:DWORD src1_sel:WORD_1
	v_mul_f16_sdwa v2, v15, v31 dst_sel:DWORD dst_unused:UNUSED_PAD src0_sel:DWORD src1_sel:WORD_1
	;; [unrolled: 1-line block ×4, first 2 shown]
	v_fma_f16 v30, v46, v30, -v1
	v_fmac_f16_e32 v45, v15, v31
	v_fma_f16 v31, v6, v31, -v2
	v_mul_f16_sdwa v2, v48, v27 dst_sel:DWORD dst_unused:UNUSED_PAD src0_sel:DWORD src1_sel:WORD_1
	v_mul_f16_sdwa v6, v50, v25 dst_sel:DWORD dst_unused:UNUSED_PAD src0_sel:DWORD src1_sel:WORD_1
	;; [unrolled: 1-line block ×3, first 2 shown]
	v_fmac_f16_e32 v63, v48, v27
	v_add_nc_u32_e32 v46, 39, v8
	v_fma_f16 v47, v47, v27, -v2
	s_waitcnt vmcnt(1)
	v_mul_f16_sdwa v2, v44, v34 dst_sel:DWORD dst_unused:UNUSED_PAD src0_sel:DWORD src1_sel:WORD_1
	v_mul_f16_sdwa v27, v43, v34 dst_sel:DWORD dst_unused:UNUSED_PAD src0_sel:DWORD src1_sel:WORD_1
	v_fmac_f16_e32 v60, v51, v29
	v_add_nc_u32_e32 v51, 52, v8
	v_mul_f16_sdwa v62, v49, v25 dst_sel:DWORD dst_unused:UNUSED_PAD src0_sel:DWORD src1_sel:WORD_1
	v_fma_f16 v49, v49, v25, -v6
	v_mul_f16_sdwa v6, v42, v32 dst_sel:DWORD dst_unused:UNUSED_PAD src0_sel:DWORD src1_sel:WORD_1
	v_fma_f16 v43, v43, v34, -v2
	v_mul_f16_sdwa v2, v11, v33 dst_sel:DWORD dst_unused:UNUSED_PAD src0_sel:DWORD src1_sel:WORD_1
	v_fma_f16 v29, v23, v29, -v1
	v_mul_f16_sdwa v23, v10, v35 dst_sel:DWORD dst_unused:UNUSED_PAD src0_sel:DWORD src1_sel:WORD_1
	v_fmac_f16_e32 v27, v44, v34
	v_mul_f16_sdwa v34, v7, v33 dst_sel:DWORD dst_unused:UNUSED_PAD src0_sel:DWORD src1_sel:WORD_1
	v_mul_f16_sdwa v64, v17, v35 dst_sel:DWORD dst_unused:UNUSED_PAD src0_sel:DWORD src1_sel:WORD_1
	v_fma_f16 v28, v22, v28, -v0
	v_fma_f16 v53, v21, v24, -v53
	;; [unrolled: 1-line block ×3, first 2 shown]
	v_mad_u64_u32 v[15:16], null, s2, v59, 0
	v_mad_u64_u32 v[21:22], null, s2, v46, 0
	v_fma_f16 v44, v41, v32, -v6
	v_fma_f16 v48, v7, v33, -v2
	v_mad_u64_u32 v[6:7], null, s2, v51, 0
	v_fmac_f16_e32 v62, v50, v25
	v_mul_f16_sdwa v41, v41, v32 dst_sel:DWORD dst_unused:UNUSED_PAD src0_sel:DWORD src1_sel:WORD_1
	v_fma_f16 v50, v17, v35, -v23
	v_fmac_f16_e32 v34, v11, v33
	v_fmac_f16_e32 v64, v10, v35
	s_waitcnt vmcnt(0)
	v_mul_f16_sdwa v33, v20, v38 dst_sel:DWORD dst_unused:UNUSED_PAD src0_sel:DWORD src1_sel:WORD_1
	v_mul_f16_sdwa v2, v13, v38 dst_sel:DWORD dst_unused:UNUSED_PAD src0_sel:DWORD src1_sel:WORD_1
	;; [unrolled: 1-line block ×4, first 2 shown]
	v_mad_u64_u32 v[0:1], null, s2, v52, 0
	v_fmac_f16_e32 v41, v42, v32
	s_waitcnt lgkmcnt(0)
	v_mul_f16_sdwa v32, v19, v36 dst_sel:DWORD dst_unused:UNUSED_PAD src0_sel:DWORD src1_sel:WORD_1
	v_mul_f16_sdwa v11, v14, v36 dst_sel:DWORD dst_unused:UNUSED_PAD src0_sel:DWORD src1_sel:WORD_1
	v_fmac_f16_e32 v33, v13, v38
	v_fma_f16 v38, v20, v38, -v2
	v_fmac_f16_e32 v35, v3, v37
	v_mov_b32_e32 v2, v16
	v_mov_b32_e32 v3, v22
	v_mad_u64_u32 v[23:24], null, s2, v61, 0
	v_fma_f16 v37, v18, v37, -v10
	v_mad_u64_u32 v[17:18], null, s3, v51, v[7:8]
	v_add_nc_u32_e32 v7, 0x4e, v8
	v_fmac_f16_e32 v32, v14, v36
	v_fma_f16 v36, v19, v36, -v11
	v_mad_u64_u32 v[10:11], null, s3, v52, v[1:2]
	v_mad_u64_u32 v[13:14], null, s3, v59, v[2:3]
	;; [unrolled: 1-line block ×4, first 2 shown]
	v_mov_b32_e32 v1, v40
	v_mov_b32_e32 v3, v24
	;; [unrolled: 1-line block ×3, first 2 shown]
	v_add_co_u32 v42, vcc_lo, s12, v4
	v_mad_u64_u32 v[18:19], null, s3, v8, v[1:2]
	v_mad_u64_u32 v[19:20], null, s3, v61, v[3:4]
	v_mov_b32_e32 v3, v26
	v_mov_b32_e32 v1, v10
	v_mov_b32_e32 v22, v2
	v_add_co_ci_u32_e32 v46, vcc_lo, s13, v5, vcc_lo
	v_mad_u64_u32 v[10:11], null, s3, v7, v[3:4]
	v_add_nc_u32_e32 v3, 0x5b, v8
	v_add_nc_u32_e32 v11, 0x68, v8
	v_mov_b32_e32 v40, v18
	v_mov_b32_e32 v7, v17
	;; [unrolled: 1-line block ×3, first 2 shown]
	v_mad_u64_u32 v[13:14], null, s2, v3, 0
	v_mad_u64_u32 v[17:18], null, s2, v11, 0
	v_mov_b32_e32 v26, v10
	v_lshlrev_b64 v[0:1], 2, v[0:1]
	v_lshlrev_b64 v[15:16], 2, v[15:16]
	;; [unrolled: 1-line block ×3, first 2 shown]
	v_mov_b32_e32 v2, v14
	v_lshlrev_b64 v[5:6], 2, v[6:7]
	v_lshlrev_b64 v[23:24], 2, v[23:24]
	;; [unrolled: 1-line block ×3, first 2 shown]
	v_sub_f16_e32 v33, v58, v33
	v_mad_u64_u32 v[2:3], null, s3, v3, v[2:3]
	v_mov_b32_e32 v3, v18
	v_sub_f16_e32 v27, v55, v27
	v_sub_f16_e32 v38, v30, v38
	;; [unrolled: 1-line block ×4, first 2 shown]
	v_mad_u64_u32 v[18:19], null, s3, v11, v[3:4]
	v_add_nc_u32_e32 v3, 0x75, v8
	v_mov_b32_e32 v14, v2
	v_sub_f16_e32 v37, v29, v37
	v_sub_f16_e32 v41, v56, v41
	;; [unrolled: 1-line block ×3, first 2 shown]
	v_mad_u64_u32 v[10:11], null, s2, v3, 0
	v_sub_f16_e32 v31, v12, v31
	v_fma_f16 v29, v29, 2.0, -v37
	v_add_f16_e32 v37, v34, v37
	v_fma_f16 v28, v28, 2.0, -v36
	v_add_f16_e32 v36, v41, v36
	v_fma_f16 v30, v30, 2.0, -v38
	v_mov_b32_e32 v2, v11
	v_fma_f16 v55, v55, 2.0, -v27
	v_fma_f16 v56, v56, 2.0, -v41
	;; [unrolled: 1-line block ×4, first 2 shown]
	v_mad_u64_u32 v[2:3], null, s3, v3, v[2:3]
	v_add_nc_u32_e32 v3, 0x82, v8
	v_lshlrev_b64 v[13:14], 2, v[13:14]
	v_lshlrev_b64 v[17:18], 2, v[17:18]
	v_add_nc_u32_e32 v61, 0x9c, v8
	v_mad_u64_u32 v[19:20], null, s2, v3, 0
	v_mov_b32_e32 v11, v2
	v_lshlrev_b64 v[10:11], 2, v[10:11]
	v_mov_b32_e32 v2, v20
	v_mad_u64_u32 v[2:3], null, s3, v3, v[2:3]
	v_lshlrev_b64 v[3:4], 2, v[39:40]
	v_sub_f16_e32 v39, v9, v45
	v_sub_f16_e32 v40, v47, v50
	v_add_f16_e32 v50, v27, v38
	v_mov_b32_e32 v20, v2
	v_add_co_u32 v2, vcc_lo, v42, v3
	v_add_co_ci_u32_e32 v3, vcc_lo, v46, v4, vcc_lo
	v_add_co_u32 v0, vcc_lo, v42, v0
	v_add_co_ci_u32_e32 v1, vcc_lo, v46, v1, vcc_lo
	;; [unrolled: 2-line block ×7, first 2 shown]
	v_sub_f16_e32 v25, v53, v44
	v_sub_f16_e32 v26, v54, v32
	;; [unrolled: 1-line block ×5, first 2 shown]
	v_add_f16_e32 v51, v39, v40
	v_sub_f16_e32 v45, v25, v26
	v_sub_f16_e32 v48, v32, v33
	v_fma_f16 v26, v54, 2.0, -v26
	v_sub_f16_e32 v52, v43, v35
	v_fma_f16 v54, v63, 2.0, -v44
	;; [unrolled: 2-line block ×3, first 2 shown]
	v_fmamk_f16 v47, v48, 0x39a8, v45
	v_fma_f16 v33, v58, 2.0, -v33
	v_fma_f16 v53, v53, 2.0, -v25
	;; [unrolled: 1-line block ×7, first 2 shown]
	v_fmamk_f16 v58, v37, 0x39a8, v51
	v_fmamk_f16 v59, v50, 0x39a8, v36
	v_fma_f16 v27, v27, 2.0, -v50
	v_fmac_f16_e32 v47, 0xb9a8, v50
	v_fmamk_f16 v50, v52, 0x39a8, v44
	v_fma_f16 v25, v25, 2.0, -v45
	v_fma_f16 v32, v32, 2.0, -v48
	;; [unrolled: 1-line block ×6, first 2 shown]
	v_sub_f16_e32 v28, v53, v28
	v_sub_f16_e32 v33, v55, v33
	;; [unrolled: 1-line block ×8, first 2 shown]
	v_fmac_f16_e32 v58, 0x39a8, v52
	v_fmamk_f16 v52, v32, 0xb9a8, v25
	v_fmac_f16_e32 v59, 0x39a8, v48
	v_fmac_f16_e32 v50, 0xb9a8, v37
	v_fmamk_f16 v37, v34, 0xb9a8, v39
	v_fmamk_f16 v48, v27, 0xb9a8, v41
	v_fmac_f16_e32 v52, 0xb9a8, v27
	v_fmamk_f16 v60, v43, 0xb9a8, v31
	v_fma_f16 v27, v55, 2.0, -v33
	v_sub_f16_e32 v33, v28, v33
	v_fma_f16 v49, v49, 2.0, -v29
	v_add_f16_e32 v29, v54, v29
	v_fma_f16 v55, v57, 2.0, -v30
	v_add_f16_e32 v30, v26, v30
	v_fma_f16 v40, v40, 2.0, -v35
	v_sub_f16_e32 v35, v38, v35
	v_fma_f16 v51, v51, 2.0, -v58
	v_fma_f16 v36, v36, 2.0, -v59
	v_fmac_f16_e32 v37, 0x39a8, v43
	v_fmamk_f16 v43, v59, 0x3b64, v58
	v_fma_f16 v45, v45, 2.0, -v47
	v_fma_f16 v44, v44, 2.0, -v50
	v_fmac_f16_e32 v48, 0x39a8, v32
	v_fmac_f16_e32 v60, 0xb9a8, v34
	v_fmamk_f16 v32, v47, 0x3b64, v50
	v_fmamk_f16 v34, v30, 0x39a8, v29
	v_fmac_f16_e32 v43, 0x361f, v47
	v_fmamk_f16 v47, v33, 0x39a8, v35
	v_fmamk_f16 v57, v36, 0xb61f, v51
	v_fma_f16 v9, v9, 2.0, -v54
	v_fma_f16 v53, v53, 2.0, -v28
	;; [unrolled: 1-line block ×8, first 2 shown]
	v_fmac_f16_e32 v34, 0x39a8, v33
	v_fmamk_f16 v33, v45, 0xb61f, v44
	v_fmac_f16_e32 v47, 0xb9a8, v30
	v_fmac_f16_e32 v57, 0x3b64, v45
	v_fmamk_f16 v45, v52, 0x361f, v60
	v_fma_f16 v30, v39, 2.0, -v37
	v_fma_f16 v39, v41, 2.0, -v48
	v_fmac_f16_e32 v32, 0xb61f, v59
	v_fmamk_f16 v59, v48, 0x361f, v37
	v_fmac_f16_e32 v33, 0xbb64, v36
	v_fmamk_f16 v36, v26, 0xb9a8, v54
	v_fma_f16 v25, v25, 2.0, -v52
	v_fmamk_f16 v41, v28, 0xb9a8, v38
	v_fma_f16 v31, v31, 2.0, -v60
	v_fmac_f16_e32 v45, 0xbb64, v48
	v_fmamk_f16 v48, v39, 0xbb64, v30
	v_fmac_f16_e32 v36, 0x39a8, v28
	v_fmac_f16_e32 v41, 0xb9a8, v26
	v_fmamk_f16 v62, v25, 0xbb64, v31
	v_sub_f16_e32 v26, v53, v55
	v_fmac_f16_e32 v48, 0x361f, v25
	v_sub_f16_e32 v25, v9, v40
	v_sub_f16_e32 v28, v12, v49
	v_sub_f16_e32 v27, v56, v27
	v_fma_f16 v40, v53, 2.0, -v26
	v_fmac_f16_e32 v59, 0x3b64, v52
	v_add_f16_e32 v49, v26, v25
	v_fma_f16 v9, v9, 2.0, -v25
	v_sub_f16_e32 v53, v28, v27
	v_fma_f16 v26, v56, 2.0, -v27
	v_fma_f16 v12, v12, 2.0, -v28
	v_add_nc_u32_e32 v52, 0x8f, v8
	v_fma_f16 v25, v25, 2.0, -v49
	v_fma_f16 v28, v28, 2.0, -v53
	v_sub_f16_e32 v55, v9, v26
	v_sub_f16_e32 v40, v12, v40
	v_fmac_f16_e32 v62, 0xb61f, v39
	v_fma_f16 v29, v29, 2.0, -v34
	v_fma_f16 v35, v35, 2.0, -v47
	;; [unrolled: 1-line block ×4, first 2 shown]
	v_pack_b32_f16 v56, v25, v28
	v_mad_u64_u32 v[25:26], null, s2, v52, 0
	v_add_co_u32 v13, vcc_lo, v42, v13
	v_fma_f16 v9, v9, 2.0, -v55
	v_fma_f16 v12, v12, 2.0, -v40
	v_add_co_ci_u32_e32 v14, vcc_lo, v46, v14, vcc_lo
	v_pack_b32_f16 v35, v29, v35
	v_fma_f16 v29, v54, 2.0, -v36
	v_fma_f16 v54, v30, 2.0, -v48
	;; [unrolled: 1-line block ×3, first 2 shown]
	v_add_co_u32 v17, vcc_lo, v42, v17
	v_pack_b32_f16 v50, v27, v50
	v_mad_u64_u32 v[27:28], null, s2, v61, 0
	v_fma_f16 v38, v38, 2.0, -v41
	v_fma_f16 v51, v51, 2.0, -v57
	;; [unrolled: 1-line block ×3, first 2 shown]
	v_add_co_ci_u32_e32 v18, vcc_lo, v46, v18, vcc_lo
	v_add_co_u32 v10, vcc_lo, v42, v10
	v_add_nc_u32_e32 v39, 0xa9, v8
	v_pack_b32_f16 v40, v55, v40
	v_fma_f16 v37, v37, 2.0, -v59
	v_fma_f16 v55, v60, 2.0, -v45
	v_pack_b32_f16 v58, v9, v12
	v_mov_b32_e32 v9, v26
	v_pack_b32_f16 v31, v54, v31
	v_pack_b32_f16 v38, v29, v38
	;; [unrolled: 1-line block ×3, first 2 shown]
	v_add_co_ci_u32_e32 v11, vcc_lo, v46, v11, vcc_lo
	v_mad_u64_u32 v[29:30], null, s2, v39, 0
	v_pack_b32_f16 v26, v37, v55
	v_pack_b32_f16 v37, v48, v62
	v_mov_b32_e32 v12, v28
	global_store_dword v[2:3], v58, off
	global_store_dword v[0:1], v31, off
	;; [unrolled: 1-line block ×10, first 2 shown]
	v_mad_u64_u32 v[0:1], null, s3, v52, v[9:10]
	v_add_nc_u32_e32 v9, 0xb6, v8
	v_mad_u64_u32 v[1:2], null, s3, v61, v[12:13]
	v_mov_b32_e32 v2, v30
	v_add_nc_u32_e32 v11, 0xc3, v8
	v_mad_u64_u32 v[3:4], null, s2, v9, 0
	v_lshlrev_b64 v[19:20], 2, v[19:20]
	v_mov_b32_e32 v26, v0
	v_mov_b32_e32 v28, v1
	v_pack_b32_f16 v7, v36, v41
	v_pack_b32_f16 v13, v57, v33
	;; [unrolled: 1-line block ×3, first 2 shown]
	v_mad_u64_u32 v[5:6], null, s3, v39, v[2:3]
	v_mad_u64_u32 v[1:2], null, s2, v11, 0
	v_add_co_u32 v19, vcc_lo, v42, v19
	v_mov_b32_e32 v0, v4
	v_add_co_ci_u32_e32 v20, vcc_lo, v46, v20, vcc_lo
	v_mov_b32_e32 v30, v5
	v_mad_u64_u32 v[4:5], null, s3, v9, v[0:1]
	v_mov_b32_e32 v0, v2
	global_store_dword v[19:20], v7, off
	v_lshlrev_b64 v[6:7], 2, v[25:26]
	v_lshlrev_b64 v[9:10], 2, v[29:30]
	v_mad_u64_u32 v[11:12], null, s3, v11, v[0:1]
	v_lshlrev_b64 v[3:4], 2, v[3:4]
	v_add_co_u32 v5, vcc_lo, v42, v6
	v_add_co_ci_u32_e32 v6, vcc_lo, v46, v7, vcc_lo
	v_lshlrev_b64 v[7:8], 2, v[27:28]
	v_mov_b32_e32 v2, v11
	v_pack_b32_f16 v12, v49, v53
	v_pack_b32_f16 v11, v59, v45
	v_add_co_u32 v7, vcc_lo, v42, v7
	v_add_co_ci_u32_e32 v8, vcc_lo, v46, v8, vcc_lo
	v_add_co_u32 v9, vcc_lo, v42, v9
	v_lshlrev_b64 v[0:1], 2, v[1:2]
	v_add_co_ci_u32_e32 v10, vcc_lo, v46, v10, vcc_lo
	v_add_co_u32 v2, vcc_lo, v42, v3
	v_add_co_ci_u32_e32 v3, vcc_lo, v46, v4, vcc_lo
	v_add_co_u32 v0, vcc_lo, v42, v0
	v_pack_b32_f16 v4, v34, v47
	v_add_co_ci_u32_e32 v1, vcc_lo, v46, v1, vcc_lo
	global_store_dword v[5:6], v13, off
	global_store_dword v[7:8], v12, off
	;; [unrolled: 1-line block ×5, first 2 shown]
	s_endpgm
	.section	.rodata,"a",@progbits
	.p2align	6, 0x0
	.amdhsa_kernel fft_rtc_back_len208_factors_13_16_wgs_64_tpt_16_halfLds_half_ip_CI_sbrr_dirReg
		.amdhsa_group_segment_fixed_size 0
		.amdhsa_private_segment_fixed_size 0
		.amdhsa_kernarg_size 88
		.amdhsa_user_sgpr_count 6
		.amdhsa_user_sgpr_private_segment_buffer 1
		.amdhsa_user_sgpr_dispatch_ptr 0
		.amdhsa_user_sgpr_queue_ptr 0
		.amdhsa_user_sgpr_kernarg_segment_ptr 1
		.amdhsa_user_sgpr_dispatch_id 0
		.amdhsa_user_sgpr_flat_scratch_init 0
		.amdhsa_user_sgpr_private_segment_size 0
		.amdhsa_wavefront_size32 1
		.amdhsa_uses_dynamic_stack 0
		.amdhsa_system_sgpr_private_segment_wavefront_offset 0
		.amdhsa_system_sgpr_workgroup_id_x 1
		.amdhsa_system_sgpr_workgroup_id_y 0
		.amdhsa_system_sgpr_workgroup_id_z 0
		.amdhsa_system_sgpr_workgroup_info 0
		.amdhsa_system_vgpr_workitem_id 0
		.amdhsa_next_free_vgpr 65
		.amdhsa_next_free_sgpr 23
		.amdhsa_reserve_vcc 1
		.amdhsa_reserve_flat_scratch 0
		.amdhsa_float_round_mode_32 0
		.amdhsa_float_round_mode_16_64 0
		.amdhsa_float_denorm_mode_32 3
		.amdhsa_float_denorm_mode_16_64 3
		.amdhsa_dx10_clamp 1
		.amdhsa_ieee_mode 1
		.amdhsa_fp16_overflow 0
		.amdhsa_workgroup_processor_mode 1
		.amdhsa_memory_ordered 1
		.amdhsa_forward_progress 0
		.amdhsa_shared_vgpr_count 0
		.amdhsa_exception_fp_ieee_invalid_op 0
		.amdhsa_exception_fp_denorm_src 0
		.amdhsa_exception_fp_ieee_div_zero 0
		.amdhsa_exception_fp_ieee_overflow 0
		.amdhsa_exception_fp_ieee_underflow 0
		.amdhsa_exception_fp_ieee_inexact 0
		.amdhsa_exception_int_div_zero 0
	.end_amdhsa_kernel
	.text
.Lfunc_end0:
	.size	fft_rtc_back_len208_factors_13_16_wgs_64_tpt_16_halfLds_half_ip_CI_sbrr_dirReg, .Lfunc_end0-fft_rtc_back_len208_factors_13_16_wgs_64_tpt_16_halfLds_half_ip_CI_sbrr_dirReg
                                        ; -- End function
	.section	.AMDGPU.csdata,"",@progbits
; Kernel info:
; codeLenInByte = 7364
; NumSgprs: 25
; NumVgprs: 65
; ScratchSize: 0
; MemoryBound: 0
; FloatMode: 240
; IeeeMode: 1
; LDSByteSize: 0 bytes/workgroup (compile time only)
; SGPRBlocks: 3
; VGPRBlocks: 8
; NumSGPRsForWavesPerEU: 25
; NumVGPRsForWavesPerEU: 65
; Occupancy: 12
; WaveLimiterHint : 1
; COMPUTE_PGM_RSRC2:SCRATCH_EN: 0
; COMPUTE_PGM_RSRC2:USER_SGPR: 6
; COMPUTE_PGM_RSRC2:TRAP_HANDLER: 0
; COMPUTE_PGM_RSRC2:TGID_X_EN: 1
; COMPUTE_PGM_RSRC2:TGID_Y_EN: 0
; COMPUTE_PGM_RSRC2:TGID_Z_EN: 0
; COMPUTE_PGM_RSRC2:TIDIG_COMP_CNT: 0
	.text
	.p2alignl 6, 3214868480
	.fill 48, 4, 3214868480
	.type	__hip_cuid_f8149ec3603466fa,@object ; @__hip_cuid_f8149ec3603466fa
	.section	.bss,"aw",@nobits
	.globl	__hip_cuid_f8149ec3603466fa
__hip_cuid_f8149ec3603466fa:
	.byte	0                               ; 0x0
	.size	__hip_cuid_f8149ec3603466fa, 1

	.ident	"AMD clang version 19.0.0git (https://github.com/RadeonOpenCompute/llvm-project roc-6.4.0 25133 c7fe45cf4b819c5991fe208aaa96edf142730f1d)"
	.section	".note.GNU-stack","",@progbits
	.addrsig
	.addrsig_sym __hip_cuid_f8149ec3603466fa
	.amdgpu_metadata
---
amdhsa.kernels:
  - .args:
      - .actual_access:  read_only
        .address_space:  global
        .offset:         0
        .size:           8
        .value_kind:     global_buffer
      - .offset:         8
        .size:           8
        .value_kind:     by_value
      - .actual_access:  read_only
        .address_space:  global
        .offset:         16
        .size:           8
        .value_kind:     global_buffer
      - .actual_access:  read_only
        .address_space:  global
        .offset:         24
        .size:           8
        .value_kind:     global_buffer
      - .offset:         32
        .size:           8
        .value_kind:     by_value
      - .actual_access:  read_only
        .address_space:  global
        .offset:         40
        .size:           8
        .value_kind:     global_buffer
      - .actual_access:  read_only
        .address_space:  global
        .offset:         48
        .size:           8
        .value_kind:     global_buffer
      - .offset:         56
        .size:           4
        .value_kind:     by_value
      - .actual_access:  read_only
        .address_space:  global
        .offset:         64
        .size:           8
        .value_kind:     global_buffer
      - .actual_access:  read_only
        .address_space:  global
        .offset:         72
        .size:           8
        .value_kind:     global_buffer
      - .address_space:  global
        .offset:         80
        .size:           8
        .value_kind:     global_buffer
    .group_segment_fixed_size: 0
    .kernarg_segment_align: 8
    .kernarg_segment_size: 88
    .language:       OpenCL C
    .language_version:
      - 2
      - 0
    .max_flat_workgroup_size: 64
    .name:           fft_rtc_back_len208_factors_13_16_wgs_64_tpt_16_halfLds_half_ip_CI_sbrr_dirReg
    .private_segment_fixed_size: 0
    .sgpr_count:     25
    .sgpr_spill_count: 0
    .symbol:         fft_rtc_back_len208_factors_13_16_wgs_64_tpt_16_halfLds_half_ip_CI_sbrr_dirReg.kd
    .uniform_work_group_size: 1
    .uses_dynamic_stack: false
    .vgpr_count:     65
    .vgpr_spill_count: 0
    .wavefront_size: 32
    .workgroup_processor_mode: 1
amdhsa.target:   amdgcn-amd-amdhsa--gfx1030
amdhsa.version:
  - 1
  - 2
...

	.end_amdgpu_metadata
